;; amdgpu-corpus repo=ROCm/rocFFT kind=compiled arch=gfx1030 opt=O3
	.text
	.amdgcn_target "amdgcn-amd-amdhsa--gfx1030"
	.amdhsa_code_object_version 6
	.protected	fft_rtc_back_len585_factors_13_5_9_wgs_195_tpt_65_dp_op_CI_CI_sbrr_dirReg ; -- Begin function fft_rtc_back_len585_factors_13_5_9_wgs_195_tpt_65_dp_op_CI_CI_sbrr_dirReg
	.globl	fft_rtc_back_len585_factors_13_5_9_wgs_195_tpt_65_dp_op_CI_CI_sbrr_dirReg
	.p2align	8
	.type	fft_rtc_back_len585_factors_13_5_9_wgs_195_tpt_65_dp_op_CI_CI_sbrr_dirReg,@function
fft_rtc_back_len585_factors_13_5_9_wgs_195_tpt_65_dp_op_CI_CI_sbrr_dirReg: ; @fft_rtc_back_len585_factors_13_5_9_wgs_195_tpt_65_dp_op_CI_CI_sbrr_dirReg
; %bb.0:
	s_clause 0x1
	s_load_dwordx4 s[16:19], s[4:5], 0x18
	s_load_dwordx4 s[12:15], s[4:5], 0x0
	v_mul_u32_u24_e32 v1, 0x3f1, v0
	v_mov_b32_e32 v20, 0
	v_mov_b32_e32 v21, 0
	s_load_dwordx4 s[8:11], s[4:5], 0x58
	s_waitcnt lgkmcnt(0)
	s_load_dwordx2 s[20:21], s[16:17], 0x0
	s_load_dwordx2 s[2:3], s[18:19], 0x0
	v_lshrrev_b32_e32 v2, 16, v1
	v_mov_b32_e32 v1, 0
	v_cmp_lt_u64_e64 s0, s[14:15], 2
	v_mov_b32_e32 v73, v21
	v_mov_b32_e32 v72, v20
	v_mad_u64_u32 v[76:77], null, s6, 3, v[2:3]
	v_mov_b32_e32 v77, v1
	s_and_b32 vcc_lo, exec_lo, s0
	v_mov_b32_e32 v74, v76
	v_mov_b32_e32 v75, v77
	s_cbranch_vccnz .LBB0_8
; %bb.1:
	s_load_dwordx2 s[0:1], s[4:5], 0x10
	v_mov_b32_e32 v20, 0
	v_mov_b32_e32 v21, 0
	s_add_u32 s6, s18, 8
	v_mov_b32_e32 v3, v76
	s_addc_u32 s7, s19, 0
	v_mov_b32_e32 v4, v77
	v_mov_b32_e32 v73, v21
	s_add_u32 s22, s16, 8
	v_mov_b32_e32 v72, v20
	s_addc_u32 s23, s17, 0
	s_mov_b64 s[26:27], 1
	s_waitcnt lgkmcnt(0)
	s_add_u32 s24, s0, 8
	s_addc_u32 s25, s1, 0
.LBB0_2:                                ; =>This Inner Loop Header: Depth=1
	s_load_dwordx2 s[28:29], s[24:25], 0x0
                                        ; implicit-def: $vgpr74_vgpr75
	s_mov_b32 s0, exec_lo
	s_waitcnt lgkmcnt(0)
	v_or_b32_e32 v2, s29, v4
	v_cmpx_ne_u64_e32 0, v[1:2]
	s_xor_b32 s1, exec_lo, s0
	s_cbranch_execz .LBB0_4
; %bb.3:                                ;   in Loop: Header=BB0_2 Depth=1
	v_cvt_f32_u32_e32 v2, s28
	v_cvt_f32_u32_e32 v5, s29
	s_sub_u32 s0, 0, s28
	s_subb_u32 s30, 0, s29
	v_fmac_f32_e32 v2, 0x4f800000, v5
	v_rcp_f32_e32 v2, v2
	v_mul_f32_e32 v2, 0x5f7ffffc, v2
	v_mul_f32_e32 v5, 0x2f800000, v2
	v_trunc_f32_e32 v5, v5
	v_fmac_f32_e32 v2, 0xcf800000, v5
	v_cvt_u32_f32_e32 v5, v5
	v_cvt_u32_f32_e32 v2, v2
	v_mul_lo_u32 v6, s0, v5
	v_mul_hi_u32 v7, s0, v2
	v_mul_lo_u32 v8, s30, v2
	v_add_nc_u32_e32 v6, v7, v6
	v_mul_lo_u32 v7, s0, v2
	v_add_nc_u32_e32 v6, v6, v8
	v_mul_hi_u32 v8, v2, v7
	v_mul_lo_u32 v9, v2, v6
	v_mul_hi_u32 v10, v2, v6
	v_mul_hi_u32 v11, v5, v7
	v_mul_lo_u32 v7, v5, v7
	v_mul_hi_u32 v12, v5, v6
	v_mul_lo_u32 v6, v5, v6
	v_add_co_u32 v8, vcc_lo, v8, v9
	v_add_co_ci_u32_e32 v9, vcc_lo, 0, v10, vcc_lo
	v_add_co_u32 v7, vcc_lo, v8, v7
	v_add_co_ci_u32_e32 v7, vcc_lo, v9, v11, vcc_lo
	v_add_co_ci_u32_e32 v8, vcc_lo, 0, v12, vcc_lo
	v_add_co_u32 v6, vcc_lo, v7, v6
	v_add_co_ci_u32_e32 v7, vcc_lo, 0, v8, vcc_lo
	v_add_co_u32 v2, vcc_lo, v2, v6
	v_add_co_ci_u32_e32 v5, vcc_lo, v5, v7, vcc_lo
	v_mul_hi_u32 v6, s0, v2
	v_mul_lo_u32 v8, s30, v2
	v_mul_lo_u32 v7, s0, v5
	v_add_nc_u32_e32 v6, v6, v7
	v_mul_lo_u32 v7, s0, v2
	v_add_nc_u32_e32 v6, v6, v8
	v_mul_hi_u32 v8, v2, v7
	v_mul_lo_u32 v9, v2, v6
	v_mul_hi_u32 v10, v2, v6
	v_mul_hi_u32 v11, v5, v7
	v_mul_lo_u32 v7, v5, v7
	v_mul_hi_u32 v12, v5, v6
	v_mul_lo_u32 v6, v5, v6
	v_add_co_u32 v8, vcc_lo, v8, v9
	v_add_co_ci_u32_e32 v9, vcc_lo, 0, v10, vcc_lo
	v_add_co_u32 v7, vcc_lo, v8, v7
	v_add_co_ci_u32_e32 v7, vcc_lo, v9, v11, vcc_lo
	v_add_co_ci_u32_e32 v8, vcc_lo, 0, v12, vcc_lo
	v_add_co_u32 v6, vcc_lo, v7, v6
	v_add_co_ci_u32_e32 v7, vcc_lo, 0, v8, vcc_lo
	v_add_co_u32 v2, vcc_lo, v2, v6
	v_add_co_ci_u32_e32 v9, vcc_lo, v5, v7, vcc_lo
	v_mul_hi_u32 v11, v3, v2
	v_mad_u64_u32 v[7:8], null, v4, v2, 0
	v_mad_u64_u32 v[5:6], null, v3, v9, 0
	v_mad_u64_u32 v[9:10], null, v4, v9, 0
	v_add_co_u32 v2, vcc_lo, v11, v5
	v_add_co_ci_u32_e32 v5, vcc_lo, 0, v6, vcc_lo
	v_add_co_u32 v2, vcc_lo, v2, v7
	v_add_co_ci_u32_e32 v2, vcc_lo, v5, v8, vcc_lo
	v_add_co_ci_u32_e32 v5, vcc_lo, 0, v10, vcc_lo
	v_add_co_u32 v2, vcc_lo, v2, v9
	v_add_co_ci_u32_e32 v7, vcc_lo, 0, v5, vcc_lo
	v_mul_lo_u32 v8, s29, v2
	v_mad_u64_u32 v[5:6], null, s28, v2, 0
	v_mul_lo_u32 v9, s28, v7
	v_sub_co_u32 v5, vcc_lo, v3, v5
	v_add3_u32 v6, v6, v9, v8
	v_sub_nc_u32_e32 v8, v4, v6
	v_subrev_co_ci_u32_e64 v8, s0, s29, v8, vcc_lo
	v_add_co_u32 v9, s0, v2, 2
	v_add_co_ci_u32_e64 v10, s0, 0, v7, s0
	v_sub_co_u32 v11, s0, v5, s28
	v_sub_co_ci_u32_e32 v6, vcc_lo, v4, v6, vcc_lo
	v_subrev_co_ci_u32_e64 v8, s0, 0, v8, s0
	v_cmp_le_u32_e32 vcc_lo, s28, v11
	v_cmp_eq_u32_e64 s0, s29, v6
	v_cndmask_b32_e64 v11, 0, -1, vcc_lo
	v_cmp_le_u32_e32 vcc_lo, s29, v8
	v_cndmask_b32_e64 v12, 0, -1, vcc_lo
	v_cmp_le_u32_e32 vcc_lo, s28, v5
	;; [unrolled: 2-line block ×3, first 2 shown]
	v_cndmask_b32_e64 v13, 0, -1, vcc_lo
	v_cmp_eq_u32_e32 vcc_lo, s29, v8
	v_cndmask_b32_e64 v5, v13, v5, s0
	v_cndmask_b32_e32 v8, v12, v11, vcc_lo
	v_add_co_u32 v11, vcc_lo, v2, 1
	v_add_co_ci_u32_e32 v12, vcc_lo, 0, v7, vcc_lo
	v_cmp_ne_u32_e32 vcc_lo, 0, v8
	v_cndmask_b32_e32 v6, v12, v10, vcc_lo
	v_cndmask_b32_e32 v8, v11, v9, vcc_lo
	v_cmp_ne_u32_e32 vcc_lo, 0, v5
	v_cndmask_b32_e32 v75, v7, v6, vcc_lo
	v_cndmask_b32_e32 v74, v2, v8, vcc_lo
.LBB0_4:                                ;   in Loop: Header=BB0_2 Depth=1
	s_andn2_saveexec_b32 s0, s1
	s_cbranch_execz .LBB0_6
; %bb.5:                                ;   in Loop: Header=BB0_2 Depth=1
	v_cvt_f32_u32_e32 v2, s28
	s_sub_i32 s1, 0, s28
	v_mov_b32_e32 v75, v1
	v_rcp_iflag_f32_e32 v2, v2
	v_mul_f32_e32 v2, 0x4f7ffffe, v2
	v_cvt_u32_f32_e32 v2, v2
	v_mul_lo_u32 v5, s1, v2
	v_mul_hi_u32 v5, v2, v5
	v_add_nc_u32_e32 v2, v2, v5
	v_mul_hi_u32 v2, v3, v2
	v_mul_lo_u32 v5, v2, s28
	v_add_nc_u32_e32 v6, 1, v2
	v_sub_nc_u32_e32 v5, v3, v5
	v_subrev_nc_u32_e32 v7, s28, v5
	v_cmp_le_u32_e32 vcc_lo, s28, v5
	v_cndmask_b32_e32 v5, v5, v7, vcc_lo
	v_cndmask_b32_e32 v2, v2, v6, vcc_lo
	v_cmp_le_u32_e32 vcc_lo, s28, v5
	v_add_nc_u32_e32 v6, 1, v2
	v_cndmask_b32_e32 v74, v2, v6, vcc_lo
.LBB0_6:                                ;   in Loop: Header=BB0_2 Depth=1
	s_or_b32 exec_lo, exec_lo, s0
	v_mul_lo_u32 v2, v75, s28
	v_mul_lo_u32 v7, v74, s29
	s_load_dwordx2 s[0:1], s[22:23], 0x0
	v_mad_u64_u32 v[5:6], null, v74, s28, 0
	s_load_dwordx2 s[28:29], s[6:7], 0x0
	s_add_u32 s26, s26, 1
	s_addc_u32 s27, s27, 0
	s_add_u32 s6, s6, 8
	s_addc_u32 s7, s7, 0
	s_add_u32 s22, s22, 8
	v_add3_u32 v2, v6, v7, v2
	v_sub_co_u32 v3, vcc_lo, v3, v5
	s_addc_u32 s23, s23, 0
	s_add_u32 s24, s24, 8
	v_sub_co_ci_u32_e32 v2, vcc_lo, v4, v2, vcc_lo
	s_addc_u32 s25, s25, 0
	s_waitcnt lgkmcnt(0)
	v_mul_lo_u32 v4, s0, v2
	v_mul_lo_u32 v5, s1, v3
	v_mad_u64_u32 v[20:21], null, s0, v3, v[20:21]
	v_mul_lo_u32 v2, s28, v2
	v_mul_lo_u32 v6, s29, v3
	v_mad_u64_u32 v[72:73], null, s28, v3, v[72:73]
	v_cmp_ge_u64_e64 s0, s[26:27], s[14:15]
	v_add3_u32 v21, v5, v21, v4
	v_add3_u32 v73, v6, v73, v2
	s_and_b32 vcc_lo, exec_lo, s0
	s_cbranch_vccnz .LBB0_8
; %bb.7:                                ;   in Loop: Header=BB0_2 Depth=1
	v_mov_b32_e32 v3, v74
	v_mov_b32_e32 v4, v75
	s_branch .LBB0_2
.LBB0_8:
	s_load_dwordx2 s[0:1], s[4:5], 0x28
	s_lshl_b64 s[6:7], s[14:15], 3
	v_mul_hi_u32 v1, 0x3f03f04, v0
	s_add_u32 s4, s18, s6
	s_addc_u32 s5, s19, s7
	v_mov_b32_e32 v149, 0
	s_load_dwordx2 s[4:5], s[4:5], 0x0
                                        ; implicit-def: $vgpr6_vgpr7
                                        ; implicit-def: $vgpr10_vgpr11
                                        ; implicit-def: $vgpr18_vgpr19
                                        ; implicit-def: $vgpr26_vgpr27
                                        ; implicit-def: $vgpr34_vgpr35
                                        ; implicit-def: $vgpr30_vgpr31
                                        ; implicit-def: $vgpr46_vgpr47
                                        ; implicit-def: $vgpr14_vgpr15
                                        ; implicit-def: $vgpr38_vgpr39
                                        ; implicit-def: $vgpr50_vgpr51
                                        ; implicit-def: $vgpr58_vgpr59
                                        ; implicit-def: $vgpr42_vgpr43
                                        ; implicit-def: $vgpr2_vgpr3
	v_mul_u32_u24_e32 v1, 0x41, v1
	v_sub_nc_u32_e32 v150, v0, v1
	s_waitcnt lgkmcnt(0)
	v_cmp_gt_u64_e32 vcc_lo, s[0:1], v[74:75]
	s_and_saveexec_b32 s1, vcc_lo
	s_cbranch_execz .LBB0_12
; %bb.9:
	s_mov_b32 s14, exec_lo
                                        ; implicit-def: $vgpr0_vgpr1
                                        ; implicit-def: $vgpr40_vgpr41
                                        ; implicit-def: $vgpr56_vgpr57
                                        ; implicit-def: $vgpr48_vgpr49
                                        ; implicit-def: $vgpr36_vgpr37
                                        ; implicit-def: $vgpr12_vgpr13
                                        ; implicit-def: $vgpr44_vgpr45
                                        ; implicit-def: $vgpr28_vgpr29
                                        ; implicit-def: $vgpr32_vgpr33
                                        ; implicit-def: $vgpr24_vgpr25
                                        ; implicit-def: $vgpr16_vgpr17
                                        ; implicit-def: $vgpr8_vgpr9
                                        ; implicit-def: $vgpr4_vgpr5
	v_cmpx_gt_u32_e32 45, v150
	s_cbranch_execz .LBB0_11
; %bb.10:
	s_add_u32 s6, s16, s6
	s_addc_u32 s7, s17, s7
	v_add_nc_u32_e32 v13, 45, v150
	s_load_dwordx2 s[6:7], s[6:7], 0x0
	v_add_nc_u32_e32 v15, 0x5a, v150
	v_mad_u64_u32 v[0:1], null, s20, v150, 0
	v_mad_u64_u32 v[2:3], null, s20, v13, 0
	;; [unrolled: 1-line block ×3, first 2 shown]
	v_add_nc_u32_e32 v16, 0x87, v150
	v_add_nc_u32_e32 v18, 0xb4, v150
	;; [unrolled: 1-line block ×4, first 2 shown]
	v_mad_u64_u32 v[10:11], null, s21, v150, v[1:2]
	v_lshlrev_b64 v[11:12], 4, v[20:21]
	v_mad_u64_u32 v[8:9], null, s20, v16, 0
	v_add_nc_u32_e32 v27, 0x1ef, v150
	v_add_nc_u32_e32 v32, 0x21c, v150
	v_mov_b32_e32 v1, v10
	s_waitcnt lgkmcnt(0)
	v_mul_lo_u32 v14, s7, v74
	v_mul_lo_u32 v17, s6, v75
	v_mad_u64_u32 v[6:7], null, s6, v74, 0
	v_lshlrev_b64 v[0:1], 4, v[0:1]
	v_mad_u64_u32 v[9:10], null, s21, v16, v[9:10]
	v_mad_u64_u32 v[21:22], null, s20, v27, 0
	v_add3_u32 v7, v7, v17, v14
	v_mad_u64_u32 v[13:14], null, s21, v13, v[3:4]
	v_add_nc_u32_e32 v17, 0xe1, v150
	v_lshlrev_b64 v[6:7], 4, v[6:7]
	v_mov_b32_e32 v3, v13
	v_mad_u64_u32 v[14:15], null, s21, v15, v[5:6]
	v_add_co_u32 v5, s0, s8, v6
	v_add_co_ci_u32_e64 v6, s0, s9, v7, s0
	v_lshlrev_b64 v[2:3], 4, v[2:3]
	v_add_co_u32 v25, s0, v5, v11
	v_add_co_ci_u32_e64 v26, s0, v6, v12, s0
	v_mad_u64_u32 v[10:11], null, s20, v18, 0
	v_add_co_u32 v0, s0, v25, v0
	v_add_co_ci_u32_e64 v1, s0, v26, v1, s0
	v_add_co_u32 v6, s0, v25, v2
	v_mov_b32_e32 v5, v14
	v_add_co_ci_u32_e64 v7, s0, v26, v3, s0
	s_clause 0x1
	global_load_dwordx4 v[0:3], v[0:1], off
	global_load_dwordx4 v[40:43], v[6:7], off
	v_lshlrev_b64 v[4:5], 4, v[4:5]
	v_lshlrev_b64 v[7:8], 4, v[8:9]
	v_mov_b32_e32 v6, v11
	v_mad_u64_u32 v[12:13], null, s20, v17, 0
	v_add_nc_u32_e32 v9, 0x10e, v150
	v_add_co_u32 v4, s0, v25, v4
	v_mad_u64_u32 v[14:15], null, s21, v18, v[6:7]
	v_mad_u64_u32 v[15:16], null, s20, v9, 0
	v_add_co_ci_u32_e64 v5, s0, v26, v5, s0
	v_mov_b32_e32 v6, v13
	v_add_co_u32 v7, s0, v25, v7
	v_mov_b32_e32 v11, v14
	v_add_co_ci_u32_e64 v8, s0, v26, v8, s0
	v_mad_u64_u32 v[13:14], null, s21, v17, v[6:7]
	v_mad_u64_u32 v[17:18], null, s20, v19, 0
	v_mov_b32_e32 v6, v16
	s_clause 0x1
	global_load_dwordx4 v[56:59], v[4:5], off
	global_load_dwordx4 v[48:51], v[7:8], off
	v_lshlrev_b64 v[4:5], 4, v[10:11]
	v_add_nc_u32_e32 v11, 0x168, v150
	v_mad_u64_u32 v[6:7], null, s21, v9, v[6:7]
	v_lshlrev_b64 v[8:9], 4, v[12:13]
	v_mov_b32_e32 v7, v18
	v_add_co_u32 v4, s0, v25, v4
	v_add_co_ci_u32_e64 v5, s0, v26, v5, s0
	v_mov_b32_e32 v16, v6
	v_mad_u64_u32 v[6:7], null, s21, v19, v[7:8]
	v_mad_u64_u32 v[19:20], null, s20, v11, 0
	v_add_co_u32 v7, s0, v25, v8
	v_add_co_ci_u32_e64 v8, s0, v26, v9, s0
	v_mov_b32_e32 v18, v6
	v_lshlrev_b64 v[9:10], 4, v[15:16]
	s_clause 0x1
	global_load_dwordx4 v[36:39], v[4:5], off
	global_load_dwordx4 v[12:15], v[7:8], off
	v_mov_b32_e32 v6, v20
	v_lshlrev_b64 v[7:8], 4, v[17:18]
	v_add_nc_u32_e32 v18, 0x195, v150
	v_add_co_u32 v4, s0, v25, v9
	v_add_co_ci_u32_e64 v5, s0, v26, v10, s0
	v_mad_u64_u32 v[9:10], null, s21, v11, v[6:7]
	v_mad_u64_u32 v[10:11], null, s20, v18, 0
	;; [unrolled: 1-line block ×3, first 2 shown]
	v_add_co_u32 v6, s0, v25, v7
	v_add_co_ci_u32_e64 v7, s0, v26, v8, s0
	v_mov_b32_e32 v20, v9
	v_mov_b32_e32 v8, v11
	;; [unrolled: 1-line block ×3, first 2 shown]
	s_clause 0x1
	global_load_dwordx4 v[44:47], v[4:5], off
	global_load_dwordx4 v[28:31], v[6:7], off
	v_mov_b32_e32 v4, v22
	v_lshlrev_b64 v[5:6], 4, v[19:20]
	v_mad_u64_u32 v[17:18], null, s21, v18, v[8:9]
	v_mad_u64_u32 v[8:9], null, s21, v23, v[9:10]
	;; [unrolled: 1-line block ×3, first 2 shown]
	v_mov_b32_e32 v11, v17
	v_mov_b32_e32 v17, v8
	v_mad_u64_u32 v[7:8], null, s21, v27, v[4:5]
	v_mov_b32_e32 v4, v24
	v_add_co_u32 v5, s0, v25, v5
	v_lshlrev_b64 v[8:9], 4, v[10:11]
	v_lshlrev_b64 v[16:17], 4, v[16:17]
	v_add_co_ci_u32_e64 v6, s0, v26, v6, s0
	v_mad_u64_u32 v[10:11], null, s21, v32, v[4:5]
	v_mov_b32_e32 v22, v7
	v_add_co_u32 v7, s0, v25, v8
	v_add_co_ci_u32_e64 v8, s0, v26, v9, s0
	v_lshlrev_b64 v[18:19], 4, v[21:22]
	v_mov_b32_e32 v24, v10
	v_add_co_u32 v9, s0, v25, v16
	v_add_co_ci_u32_e64 v10, s0, v26, v17, s0
	v_lshlrev_b64 v[16:17], 4, v[23:24]
	v_add_co_u32 v20, s0, v25, v18
	v_add_co_ci_u32_e64 v21, s0, v26, v19, s0
	v_add_co_u32 v22, s0, v25, v16
	v_add_co_ci_u32_e64 v23, s0, v26, v17, s0
	s_clause 0x4
	global_load_dwordx4 v[32:35], v[5:6], off
	global_load_dwordx4 v[24:27], v[7:8], off
	;; [unrolled: 1-line block ×5, first 2 shown]
.LBB0_11:
	s_or_b32 exec_lo, exec_lo, s14
	v_mov_b32_e32 v149, v150
.LBB0_12:
	s_or_b32 exec_lo, exec_lo, s1
	s_waitcnt vmcnt(0)
	v_add_f64 v[77:78], v[42:43], -v[6:7]
	v_add_f64 v[89:90], v[40:41], -v[4:5]
	s_mov_b32 s20, 0x2ef20147
	s_mov_b32 s21, 0xbfedeba7
	v_add_f64 v[91:92], v[4:5], v[40:41]
	v_add_f64 v[79:80], v[58:59], -v[10:11]
	v_add_f64 v[83:84], v[6:7], v[42:43]
	v_add_f64 v[99:100], v[56:57], -v[8:9]
	s_mov_b32 s16, 0xb2365da1
	s_mov_b32 s6, 0x24c2f84
	;; [unrolled: 1-line block ×8, first 2 shown]
	v_add_f64 v[95:96], v[8:9], v[56:57]
	v_add_f64 v[81:82], v[10:11], v[58:59]
	v_add_f64 v[85:86], v[50:51], -v[18:19]
	v_add_f64 v[115:116], v[48:49], -v[16:17]
	s_mov_b32 s8, 0xd0032e0c
	s_mov_b32 s18, 0x4267c47c
	v_mul_f64 v[117:118], v[77:78], s[20:21]
	v_mul_f64 v[119:120], v[89:90], s[20:21]
	;; [unrolled: 1-line block ×8, first 2 shown]
	s_mov_b32 s24, 0x66966769
	s_mov_b32 s30, 0x93053d00
	;; [unrolled: 1-line block ×6, first 2 shown]
	v_add_f64 v[111:112], v[16:17], v[48:49]
	v_add_f64 v[87:88], v[18:19], v[50:51]
	v_mul_f64 v[68:69], v[79:80], s[24:25]
	v_mul_f64 v[70:71], v[99:100], s[24:25]
	;; [unrolled: 1-line block ×6, first 2 shown]
	v_fma_f64 v[20:21], v[91:92], s[16:17], -v[117:118]
	v_fma_f64 v[22:23], v[83:84], s[16:17], v[119:120]
	v_fma_f64 v[125:126], v[91:92], s[8:9], v[52:53]
	v_fma_f64 v[129:130], v[83:84], s[8:9], -v[54:55]
	v_fma_f64 v[52:53], v[91:92], s[8:9], -v[52:53]
	;; [unrolled: 1-line block ×3, first 2 shown]
	v_fma_f64 v[54:55], v[83:84], s[8:9], v[54:55]
	v_fma_f64 v[66:67], v[81:82], s[8:9], v[123:124]
	;; [unrolled: 1-line block ×3, first 2 shown]
	v_fma_f64 v[153:154], v[83:84], s[30:31], -v[62:63]
	v_fma_f64 v[60:61], v[91:92], s[30:31], -v[60:61]
	v_fma_f64 v[62:63], v[83:84], s[30:31], v[62:63]
	s_mov_b32 s22, 0xe00740e9
	s_mov_b32 s26, 0xebaa3ed8
	s_mov_b32 s40, 0x42a4c3d2
	s_mov_b32 s23, 0x3fec55a7
	s_mov_b32 s27, 0x3fbedb7d
	s_mov_b32 s41, 0xbfea55e2
	v_add_f64 v[93:94], v[38:39], -v[26:27]
	v_add_f64 v[107:108], v[36:37], -v[24:25]
	v_mul_f64 v[131:132], v[85:86], s[40:41]
	v_mul_f64 v[139:140], v[115:116], s[40:41]
	v_add_f64 v[20:21], v[0:1], v[20:21]
	v_add_f64 v[22:23], v[2:3], v[22:23]
	v_fma_f64 v[147:148], v[111:112], s[22:23], -v[127:128]
	v_fma_f64 v[155:156], v[87:88], s[22:23], v[141:142]
	v_fma_f64 v[159:160], v[95:96], s[26:27], v[68:69]
	v_fma_f64 v[161:162], v[81:82], s[26:27], -v[70:71]
	v_add_f64 v[125:126], v[0:1], v[125:126]
	v_add_f64 v[129:130], v[2:3], v[129:130]
	v_fma_f64 v[68:69], v[95:96], s[26:27], -v[68:69]
	v_fma_f64 v[70:71], v[81:82], s[26:27], v[70:71]
	v_fma_f64 v[165:166], v[95:96], s[22:23], v[143:144]
	v_add_f64 v[52:53], v[0:1], v[52:53]
	v_add_f64 v[54:55], v[2:3], v[54:55]
	;; [unrolled: 1-line block ×3, first 2 shown]
	v_fma_f64 v[167:168], v[81:82], s[22:23], -v[145:146]
	v_fma_f64 v[169:170], v[95:96], s[22:23], -v[143:144]
	v_add_f64 v[153:154], v[2:3], v[153:154]
	v_fma_f64 v[145:146], v[81:82], s[22:23], v[145:146]
	v_add_f64 v[60:61], v[0:1], v[60:61]
	v_add_f64 v[62:63], v[2:3], v[62:63]
	s_mov_b32 s38, 0x1ea71119
	s_mov_b32 s35, 0x3fcea1e5
	v_add_f64 v[20:21], v[64:65], v[20:21]
	v_add_f64 v[22:23], v[66:67], v[22:23]
	v_mul_f64 v[64:65], v[85:86], s[6:7]
	v_mul_f64 v[66:67], v[115:116], s[6:7]
	s_mov_b32 s39, 0x3fe22d96
	s_mov_b32 s43, 0x3fea55e2
	;; [unrolled: 1-line block ×4, first 2 shown]
	v_add_f64 v[101:102], v[24:25], v[36:37]
	v_add_f64 v[97:98], v[26:27], v[38:39]
	v_add_f64 v[103:104], v[14:15], -v[34:35]
	v_add_f64 v[113:114], v[12:13], -v[32:33]
	v_fma_f64 v[171:172], v[111:112], s[38:39], v[131:132]
	v_fma_f64 v[173:174], v[87:88], s[38:39], -v[139:140]
	v_add_f64 v[159:160], v[159:160], v[125:126]
	v_add_f64 v[129:130], v[161:162], v[129:130]
	v_mul_f64 v[161:162], v[93:94], s[42:43]
	v_fma_f64 v[177:178], v[111:112], s[38:39], -v[131:132]
	v_fma_f64 v[139:140], v[87:88], s[38:39], v[139:140]
	v_add_f64 v[52:53], v[68:69], v[52:53]
	v_add_f64 v[54:55], v[70:71], v[54:55]
	;; [unrolled: 1-line block ×5, first 2 shown]
	v_mul_f64 v[147:148], v[93:94], s[34:35]
	v_mul_f64 v[155:156], v[107:108], s[34:35]
	v_fma_f64 v[68:69], v[111:112], s[8:9], v[64:65]
	s_mov_b32 s37, 0xbfefc445
	s_mov_b32 s36, s24
	v_mul_f64 v[175:176], v[107:108], s[42:43]
	v_mul_f64 v[135:136], v[93:94], s[36:37]
	;; [unrolled: 1-line block ×3, first 2 shown]
	v_fma_f64 v[70:71], v[87:88], s[8:9], -v[66:67]
	v_add_f64 v[153:154], v[167:168], v[153:154]
	v_fma_f64 v[64:65], v[111:112], s[8:9], -v[64:65]
	v_add_f64 v[60:61], v[169:170], v[60:61]
	v_add_f64 v[62:63], v[145:146], v[62:63]
	v_fma_f64 v[66:67], v[87:88], s[8:9], v[66:67]
	v_add_f64 v[109:110], v[32:33], v[12:13]
	v_add_f64 v[105:106], v[34:35], v[14:15]
	v_add_f64 v[125:126], v[46:47], -v[30:31]
	v_add_f64 v[159:160], v[171:172], v[159:160]
	v_add_f64 v[165:166], v[173:174], v[129:130]
	v_mul_f64 v[171:172], v[103:104], s[18:19]
	v_mul_f64 v[173:174], v[113:114], s[18:19]
	v_add_f64 v[52:53], v[177:178], v[52:53]
	v_fma_f64 v[167:168], v[101:102], s[30:31], v[147:148]
	v_fma_f64 v[169:170], v[97:98], s[30:31], -v[155:156]
	v_add_f64 v[54:55], v[139:140], v[54:55]
	v_fma_f64 v[177:178], v[101:102], s[30:31], -v[147:148]
	v_fma_f64 v[155:156], v[97:98], s[30:31], v[155:156]
	v_add_f64 v[68:69], v[68:69], v[151:152]
	v_fma_f64 v[151:152], v[101:102], s[38:39], v[161:162]
	v_mul_f64 v[179:180], v[103:104], s[20:21]
	v_mul_f64 v[133:134], v[103:104], s[34:35]
	v_fma_f64 v[157:158], v[101:102], s[26:27], -v[135:136]
	v_fma_f64 v[163:164], v[97:98], s[26:27], v[137:138]
	v_mul_f64 v[143:144], v[113:114], s[34:35]
	v_add_f64 v[131:132], v[44:45], -v[28:29]
	v_add_f64 v[70:71], v[70:71], v[153:154]
	v_fma_f64 v[153:154], v[97:98], s[38:39], -v[175:176]
	v_mul_f64 v[181:182], v[113:114], s[20:21]
	v_add_f64 v[60:61], v[64:65], v[60:61]
	v_add_f64 v[62:63], v[66:67], v[62:63]
	v_fma_f64 v[64:65], v[101:102], s[38:39], -v[161:162]
	v_fma_f64 v[66:67], v[97:98], s[38:39], v[175:176]
	v_add_f64 v[139:140], v[28:29], v[44:45]
	v_mul_f64 v[145:146], v[125:126], s[42:43]
	v_add_f64 v[159:160], v[167:168], v[159:160]
	v_add_f64 v[161:162], v[169:170], v[165:166]
	v_fma_f64 v[165:166], v[109:110], s[22:23], v[171:172]
	v_fma_f64 v[167:168], v[105:106], s[22:23], -v[173:174]
	v_mul_f64 v[169:170], v[125:126], s[20:21]
	v_add_f64 v[52:53], v[177:178], v[52:53]
	v_add_f64 v[54:55], v[155:156], v[54:55]
	v_fma_f64 v[155:156], v[109:110], s[22:23], -v[171:172]
	v_fma_f64 v[171:172], v[105:106], s[22:23], v[173:174]
	v_add_f64 v[68:69], v[151:152], v[68:69]
	v_fma_f64 v[151:152], v[109:110], s[16:17], v[179:180]
	v_mul_f64 v[173:174], v[125:126], s[24:25]
	v_add_f64 v[20:21], v[157:158], v[20:21]
	v_add_f64 v[22:23], v[163:164], v[22:23]
	v_fma_f64 v[157:158], v[109:110], s[30:31], -v[133:134]
	v_fma_f64 v[163:164], v[105:106], s[30:31], v[143:144]
	v_add_f64 v[129:130], v[30:31], v[46:47]
	v_mul_f64 v[147:148], v[131:132], s[42:43]
	v_mul_f64 v[175:176], v[131:132], s[20:21]
	v_add_f64 v[70:71], v[153:154], v[70:71]
	v_fma_f64 v[153:154], v[105:106], s[16:17], -v[181:182]
	v_mul_f64 v[177:178], v[131:132], s[24:25]
	v_add_f64 v[60:61], v[64:65], v[60:61]
	v_add_f64 v[62:63], v[66:67], v[62:63]
	v_fma_f64 v[64:65], v[109:110], s[16:17], -v[179:180]
	v_fma_f64 v[66:67], v[105:106], s[16:17], v[181:182]
	v_add_f64 v[159:160], v[165:166], v[159:160]
	v_add_f64 v[161:162], v[167:168], v[161:162]
	v_fma_f64 v[165:166], v[139:140], s[16:17], v[169:170]
	v_add_f64 v[52:53], v[155:156], v[52:53]
	v_add_f64 v[54:55], v[171:172], v[54:55]
	v_fma_f64 v[155:156], v[139:140], s[16:17], -v[169:170]
	v_add_f64 v[151:152], v[151:152], v[68:69]
	v_fma_f64 v[171:172], v[139:140], s[26:27], v[173:174]
	v_fma_f64 v[173:174], v[139:140], s[26:27], -v[173:174]
	v_mul_hi_u32 v179, 0xaaaaaaab, v76
	v_add_f64 v[20:21], v[157:158], v[20:21]
	v_add_f64 v[22:23], v[163:164], v[22:23]
	v_fma_f64 v[157:158], v[139:140], s[38:39], -v[145:146]
	v_fma_f64 v[163:164], v[129:130], s[38:39], v[147:148]
	v_fma_f64 v[167:168], v[129:130], s[16:17], -v[175:176]
	v_fma_f64 v[169:170], v[129:130], s[16:17], v[175:176]
	v_add_f64 v[153:154], v[153:154], v[70:71]
	v_fma_f64 v[175:176], v[129:130], s[26:27], -v[177:178]
	v_fma_f64 v[177:178], v[129:130], s[26:27], v[177:178]
	s_mov_b32 s33, exec_lo
	v_add_f64 v[60:61], v[64:65], v[60:61]
	v_add_f64 v[62:63], v[66:67], v[62:63]
	;; [unrolled: 1-line block ×4, first 2 shown]
	v_lshrrev_b32_e32 v151, 1, v179
	v_add_f64 v[68:69], v[157:158], v[20:21]
	v_add_f64 v[70:71], v[163:164], v[22:23]
	;; [unrolled: 1-line block ×6, first 2 shown]
	v_lshl_add_u32 v151, v151, 1, v151
	v_add_f64 v[60:61], v[173:174], v[60:61]
	v_add_f64 v[62:63], v[177:178], v[62:63]
	v_sub_nc_u32_e32 v76, v76, v151
	v_mul_u32_u24_e32 v76, 0x249, v76
	v_lshlrev_b32_e32 v76, 4, v76
	v_cmpx_gt_u32_e32 45, v150
	s_cbranch_execz .LBB0_14
; %bb.13:
	v_add_f64 v[40:41], v[40:41], v[0:1]
	v_mul_f64 v[153:154], v[91:92], s[16:17]
	v_add_f64 v[42:43], v[42:43], v[2:3]
	v_mul_f64 v[151:152], v[83:84], s[16:17]
	v_mul_f64 v[155:156], v[89:90], s[36:37]
	;; [unrolled: 1-line block ×7, first 2 shown]
	s_mov_b32 s1, 0x3fedeba7
	s_mov_b32 s0, s20
	v_mul_f64 v[165:166], v[101:102], s[26:27]
	v_mul_f64 v[187:188], v[115:116], s[0:1]
	;; [unrolled: 1-line block ×3, first 2 shown]
	s_mov_b32 s45, 0xbfddbe06
	s_mov_b32 s44, s18
	v_mul_f64 v[189:190], v[101:102], s[22:23]
	v_mul_f64 v[169:170], v[109:110], s[30:31]
	;; [unrolled: 1-line block ×5, first 2 shown]
	v_add_f64 v[40:41], v[56:57], v[40:41]
	v_mul_f64 v[56:57], v[95:96], s[8:9]
	v_add_f64 v[117:118], v[117:118], v[153:154]
	v_add_f64 v[42:43], v[58:59], v[42:43]
	v_mul_f64 v[58:59], v[81:82], s[8:9]
	v_add_f64 v[119:120], v[151:152], -v[119:120]
	v_fma_f64 v[173:174], v[83:84], s[26:27], v[155:156]
	v_fma_f64 v[175:176], v[77:78], s[24:25], v[157:158]
	v_add_f64 v[127:128], v[127:128], v[159:160]
	v_mul_f64 v[151:152], v[97:98], s[26:27]
	v_add_f64 v[141:142], v[161:162], -v[141:142]
	v_mul_f64 v[153:154], v[139:140], s[38:39]
	v_add_f64 v[135:136], v[135:136], v[165:166]
	v_mul_f64 v[159:160], v[95:96], s[16:17]
	v_add_f64 v[143:144], v[171:172], -v[143:144]
	v_mul_f64 v[95:96], v[95:96], s[38:39]
	v_fma_f64 v[165:166], v[87:88], s[16:17], -v[187:188]
	v_mul_f64 v[161:162], v[111:112], s[30:31]
	v_mul_f64 v[181:182], v[113:114], s[40:41]
	v_mul_f64 v[185:186], v[109:110], s[38:39]
	v_mul_f64 v[179:180], v[131:132], s[6:7]
	v_mul_f64 v[177:178], v[129:130], s[38:39]
	v_add_f64 v[40:41], v[48:49], v[40:41]
	v_add_f64 v[56:57], v[121:122], v[56:57]
	;; [unrolled: 1-line block ×4, first 2 shown]
	v_add_f64 v[58:59], v[58:59], -v[123:124]
	v_add_f64 v[119:120], v[2:3], v[119:120]
	v_fma_f64 v[121:122], v[81:82], s[30:31], v[163:164]
	v_fma_f64 v[123:124], v[83:84], s[26:27], -v[155:156]
	v_fma_f64 v[155:156], v[77:78], s[36:37], v[157:158]
	v_add_f64 v[173:174], v[2:3], v[173:174]
	v_mul_f64 v[48:49], v[111:112], s[16:17]
	v_fma_f64 v[157:158], v[79:80], s[34:35], v[167:168]
	v_add_f64 v[175:176], v[0:1], v[175:176]
	v_fma_f64 v[163:164], v[81:82], s[30:31], -v[163:164]
	v_fma_f64 v[167:168], v[79:80], s[28:29], v[167:168]
	v_add_f64 v[137:138], v[151:152], -v[137:138]
	v_add_f64 v[145:146], v[145:146], v[153:154]
	v_fma_f64 v[153:154], v[93:94], s[44:45], v[189:190]
	v_fma_f64 v[151:152], v[97:98], s[22:23], v[183:184]
	v_mul_f64 v[111:112], v[111:112], s[26:27]
	v_mul_f64 v[50:51], v[139:140], s[8:9]
	v_add_f64 v[147:148], v[177:178], -v[147:148]
	v_add_f64 v[36:37], v[36:37], v[40:41]
	v_mul_f64 v[40:41], v[99:100], s[20:21]
	v_add_f64 v[56:57], v[56:57], v[117:118]
	v_add_f64 v[38:39], v[38:39], v[42:43]
	v_mul_f64 v[42:43], v[89:90], s[40:41]
	v_add_f64 v[58:59], v[58:59], v[119:120]
	v_fma_f64 v[117:118], v[87:88], s[16:17], v[187:188]
	v_add_f64 v[123:124], v[2:3], v[123:124]
	v_add_f64 v[155:156], v[0:1], v[155:156]
	;; [unrolled: 1-line block ×3, first 2 shown]
	v_mul_f64 v[173:174], v[91:92], s[38:39]
	v_fma_f64 v[119:120], v[85:86], s[20:21], v[48:49]
	v_add_f64 v[157:158], v[157:158], v[175:176]
	v_mul_f64 v[91:92], v[91:92], s[22:23]
	v_mul_f64 v[89:90], v[89:90], s[44:45]
	v_fma_f64 v[48:49], v[85:86], s[0:1], v[48:49]
	v_mul_f64 v[99:100], v[99:100], s[40:41]
	v_add_f64 v[12:13], v[12:13], v[36:37]
	v_fma_f64 v[36:37], v[105:106], s[38:39], -v[181:182]
	v_add_f64 v[56:57], v[127:128], v[56:57]
	v_add_f64 v[14:15], v[14:15], v[38:39]
	v_fma_f64 v[38:39], v[97:98], s[22:23], -v[183:184]
	v_add_f64 v[58:59], v[141:142], v[58:59]
	v_fma_f64 v[127:128], v[129:130], s[8:9], v[179:180]
	v_add_f64 v[123:124], v[163:164], v[123:124]
	v_add_f64 v[155:156], v[167:168], v[155:156]
	v_fma_f64 v[163:164], v[83:84], s[38:39], v[42:43]
	v_fma_f64 v[171:172], v[77:78], s[42:43], v[173:174]
	v_fma_f64 v[42:43], v[83:84], s[38:39], -v[42:43]
	v_fma_f64 v[173:174], v[77:78], s[40:41], v[173:174]
	v_add_f64 v[119:120], v[119:120], v[157:158]
	v_add_f64 v[117:118], v[117:118], v[121:122]
	;; [unrolled: 1-line block ×3, first 2 shown]
	v_fma_f64 v[175:176], v[83:84], s[22:23], v[89:90]
	v_fma_f64 v[83:84], v[83:84], s[22:23], -v[89:90]
	v_fma_f64 v[89:90], v[81:82], s[38:39], v[99:100]
	v_fma_f64 v[169:170], v[93:94], s[18:19], v[189:190]
	;; [unrolled: 1-line block ×4, first 2 shown]
	v_add_f64 v[12:13], v[44:45], v[12:13]
	v_fma_f64 v[44:45], v[79:80], s[20:21], v[159:160]
	v_add_f64 v[56:57], v[135:136], v[56:57]
	v_fma_f64 v[135:136], v[77:78], s[18:19], v[91:92]
	v_fma_f64 v[77:78], v[77:78], s[44:45], v[91:92]
	v_add_f64 v[14:15], v[46:47], v[14:15]
	v_add_f64 v[58:59], v[137:138], v[58:59]
	v_fma_f64 v[137:138], v[81:82], s[16:17], v[40:41]
	v_add_f64 v[48:49], v[48:49], v[155:156]
	v_fma_f64 v[40:41], v[81:82], s[16:17], -v[40:41]
	v_add_f64 v[46:47], v[2:3], v[163:164]
	v_add_f64 v[42:43], v[2:3], v[42:43]
	;; [unrolled: 1-line block ×4, first 2 shown]
	v_fma_f64 v[91:92], v[79:80], s[0:1], v[159:160]
	v_add_f64 v[153:154], v[0:1], v[171:172]
	v_add_f64 v[123:124], v[165:166], v[123:124]
	v_add_f64 v[117:118], v[151:152], v[117:118]
	v_fma_f64 v[151:152], v[79:80], s[42:43], v[95:96]
	v_add_f64 v[159:160], v[2:3], v[175:176]
	v_fma_f64 v[79:80], v[79:80], s[40:41], v[95:96]
	v_add_f64 v[2:3], v[2:3], v[83:84]
	v_add_f64 v[12:13], v[28:29], v[12:13]
	v_mul_f64 v[28:29], v[107:108], s[14:15]
	v_add_f64 v[56:57], v[121:122], v[56:57]
	v_add_f64 v[121:122], v[0:1], v[135:136]
	;; [unrolled: 1-line block ×3, first 2 shown]
	v_fma_f64 v[77:78], v[81:82], s[38:39], -v[99:100]
	v_add_f64 v[14:15], v[30:31], v[14:15]
	v_fma_f64 v[30:31], v[87:88], s[30:31], v[191:192]
	v_mul_f64 v[81:82], v[101:102], s[8:9]
	v_fma_f64 v[95:96], v[87:88], s[30:31], -v[191:192]
	v_add_f64 v[46:47], v[137:138], v[46:47]
	v_add_f64 v[40:41], v[40:41], v[42:43]
	v_fma_f64 v[42:43], v[85:86], s[28:29], v[161:162]
	v_add_f64 v[44:45], v[44:45], v[155:156]
	v_fma_f64 v[83:84], v[85:86], s[34:35], v[161:162]
	v_add_f64 v[91:92], v[91:92], v[153:154]
	v_add_f64 v[38:39], v[38:39], v[123:124]
	v_mul_f64 v[99:100], v[107:108], s[20:21]
	v_fma_f64 v[107:108], v[87:88], s[26:27], v[115:116]
	v_add_f64 v[89:90], v[89:90], v[159:160]
	v_mul_f64 v[101:102], v[101:102], s[16:17]
	v_fma_f64 v[123:124], v[85:86], s[24:25], v[111:112]
	v_fma_f64 v[85:86], v[85:86], s[36:37], v[111:112]
	v_add_f64 v[12:13], v[32:33], v[12:13]
	v_mul_f64 v[32:33], v[113:114], s[24:25]
	v_add_f64 v[121:122], v[151:152], v[121:122]
	v_add_f64 v[0:1], v[79:80], v[0:1]
	v_fma_f64 v[79:80], v[87:88], s[26:27], -v[115:116]
	v_add_f64 v[2:3], v[77:78], v[2:3]
	v_add_f64 v[14:15], v[34:35], v[14:15]
	v_fma_f64 v[34:35], v[97:98], s[8:9], v[28:29]
	v_fma_f64 v[77:78], v[93:94], s[6:7], v[81:82]
	v_add_f64 v[30:31], v[30:31], v[46:47]
	v_mul_f64 v[46:47], v[109:110], s[26:27]
	v_fma_f64 v[28:29], v[97:98], s[8:9], -v[28:29]
	v_add_f64 v[40:41], v[95:96], v[40:41]
	v_fma_f64 v[81:82], v[93:94], s[14:15], v[81:82]
	v_add_f64 v[42:43], v[42:43], v[44:45]
	v_add_f64 v[83:84], v[83:84], v[91:92]
	v_mul_f64 v[44:45], v[113:114], s[6:7]
	v_fma_f64 v[87:88], v[97:98], s[16:17], v[99:100]
	v_add_f64 v[89:90], v[107:108], v[89:90]
	v_mul_f64 v[91:92], v[109:110], s[8:9]
	v_fma_f64 v[95:96], v[93:94], s[0:1], v[101:102]
	v_fma_f64 v[93:94], v[93:94], s[20:21], v[101:102]
	v_add_f64 v[12:13], v[24:25], v[12:13]
	v_add_f64 v[48:49], v[169:170], v[48:49]
	;; [unrolled: 1-line block ×4, first 2 shown]
	v_fma_f64 v[85:86], v[97:98], s[16:17], -v[99:100]
	v_add_f64 v[2:3], v[79:80], v[2:3]
	v_add_f64 v[14:15], v[26:27], v[14:15]
	v_mul_f64 v[24:25], v[131:132], s[18:19]
	v_fma_f64 v[26:27], v[105:106], s[26:27], v[32:33]
	v_add_f64 v[30:31], v[34:35], v[30:31]
	v_mul_f64 v[34:35], v[139:140], s[22:23]
	v_fma_f64 v[32:33], v[105:106], s[26:27], -v[32:33]
	v_add_f64 v[28:29], v[28:29], v[40:41]
	v_fma_f64 v[40:41], v[103:104], s[24:25], v[46:47]
	v_add_f64 v[42:43], v[81:82], v[42:43]
	v_fma_f64 v[157:158], v[103:104], s[42:43], v[185:186]
	v_fma_f64 v[79:80], v[103:104], s[36:37], v[46:47]
	v_add_f64 v[77:78], v[77:78], v[83:84]
	v_mul_f64 v[46:47], v[131:132], s[28:29]
	v_fma_f64 v[81:82], v[105:106], s[8:9], v[44:45]
	v_add_f64 v[83:84], v[87:88], v[89:90]
	v_mul_f64 v[87:88], v[139:140], s[30:31]
	v_fma_f64 v[89:90], v[103:104], s[14:15], v[91:92]
	v_fma_f64 v[91:92], v[103:104], s[6:7], v[91:92]
	v_fma_f64 v[44:45], v[105:106], s[8:9], -v[44:45]
	v_add_f64 v[0:1], v[93:94], v[0:1]
	v_add_f64 v[12:13], v[16:17], v[12:13]
	;; [unrolled: 1-line block ×5, first 2 shown]
	v_fma_f64 v[16:17], v[129:130], s[8:9], -v[179:180]
	v_add_f64 v[18:19], v[36:37], v[38:39]
	v_add_f64 v[38:39], v[167:168], v[48:49]
	v_fma_f64 v[48:49], v[129:130], s[22:23], v[24:25]
	v_add_f64 v[26:27], v[26:27], v[30:31]
	v_fma_f64 v[30:31], v[125:126], s[44:45], v[34:35]
	v_fma_f64 v[24:25], v[129:130], s[22:23], -v[24:25]
	v_add_f64 v[28:29], v[32:33], v[28:29]
	v_fma_f64 v[32:33], v[125:126], s[18:19], v[34:35]
	v_add_f64 v[34:35], v[40:41], v[42:43]
	v_fma_f64 v[36:37], v[125:126], s[6:7], v[50:51]
	;; [unrolled: 2-line block ×3, first 2 shown]
	v_add_f64 v[117:118], v[133:134], v[117:118]
	v_add_f64 v[119:120], v[157:158], v[119:120]
	;; [unrolled: 1-line block ×3, first 2 shown]
	v_fma_f64 v[40:41], v[129:130], s[30:31], v[46:47]
	v_add_f64 v[42:43], v[81:82], v[83:84]
	v_fma_f64 v[81:82], v[125:126], s[28:29], v[87:88]
	v_add_f64 v[83:84], v[91:92], v[0:1]
	v_fma_f64 v[46:47], v[129:130], s[30:31], -v[46:47]
	v_add_f64 v[44:45], v[44:45], v[2:3]
	v_fma_f64 v[77:78], v[125:126], s[34:35], v[87:88]
	v_add_f64 v[85:86], v[10:11], v[14:15]
	v_add_f64 v[87:88], v[8:9], v[12:13]
	;; [unrolled: 1-line block ×10, first 2 shown]
	v_mul_u32_u24_e32 v36, 0xd0, v150
	v_add_f64 v[10:11], v[127:128], v[117:118]
	v_add_f64 v[8:9], v[141:142], v[119:120]
	;; [unrolled: 1-line block ×4, first 2 shown]
	v_add3_u32 v36, 0, v36, v76
	v_add_f64 v[32:33], v[81:82], v[83:84]
	v_add_f64 v[34:35], v[46:47], v[44:45]
	;; [unrolled: 1-line block ×5, first 2 shown]
	ds_write_b128 v36, v[20:23] offset:80
	ds_write_b128 v36, v[52:55] offset:96
	;; [unrolled: 1-line block ×11, first 2 shown]
	ds_write_b128 v36, v[4:7]
	ds_write_b128 v36, v[28:31] offset:192
.LBB0_14:
	s_or_b32 exec_lo, exec_lo, s33
	v_lshlrev_b32_e32 v0, 4, v150
	s_waitcnt lgkmcnt(0)
	s_barrier
	buffer_gl0_inv
	v_cmp_gt_u32_e64 s0, 52, v150
	v_add3_u32 v24, 0, v76, v0
	v_add3_u32 v25, 0, v0, v76
	ds_read_b128 v[0:3], v24
	ds_read_b128 v[16:19], v25 offset:1872
	ds_read_b128 v[4:7], v25 offset:3744
	;; [unrolled: 1-line block ×4, first 2 shown]
	s_and_saveexec_b32 s1, s0
	s_cbranch_execz .LBB0_16
; %bb.15:
	ds_read_b128 v[20:23], v25 offset:1040
	ds_read_b128 v[52:55], v25 offset:2912
	;; [unrolled: 1-line block ×5, first 2 shown]
.LBB0_16:
	s_or_b32 exec_lo, exec_lo, s1
	v_and_b32_e32 v26, 0xff, v150
	s_mov_b32 s6, 0x134454ff
	s_mov_b32 s7, 0xbfee6f0e
	;; [unrolled: 1-line block ×4, first 2 shown]
	v_mul_lo_u16 v26, 0x4f, v26
	s_mov_b32 s16, 0x4755a5e
	s_mov_b32 s17, 0xbfe2cf23
	;; [unrolled: 1-line block ×4, first 2 shown]
	v_lshrrev_b16 v51, 10, v26
	v_mov_b32_e32 v26, 6
	s_mov_b32 s18, 0x372fe950
	s_mov_b32 s19, 0x3fd3c6ef
	v_mul_lo_u16 v27, v51, 13
	v_sub_nc_u16 v81, v150, v27
	v_lshlrev_b32_sdwa v39, v26, v81 dst_sel:DWORD dst_unused:UNUSED_PAD src0_sel:DWORD src1_sel:BYTE_0
	s_clause 0x3
	global_load_dwordx4 v[27:30], v39, s[12:13]
	global_load_dwordx4 v[31:34], v39, s[12:13] offset:16
	global_load_dwordx4 v[35:38], v39, s[12:13] offset:32
	;; [unrolled: 1-line block ×3, first 2 shown]
	s_waitcnt vmcnt(0) lgkmcnt(0)
	s_barrier
	buffer_gl0_inv
	v_mul_f64 v[43:44], v[18:19], v[29:30]
	v_mul_f64 v[45:46], v[6:7], v[33:34]
	;; [unrolled: 1-line block ×8, first 2 shown]
	v_fma_f64 v[16:17], v[16:17], v[27:28], v[43:44]
	v_fma_f64 v[4:5], v[4:5], v[31:32], v[45:46]
	;; [unrolled: 1-line block ×4, first 2 shown]
	v_fma_f64 v[6:7], v[6:7], v[31:32], -v[33:34]
	v_fma_f64 v[10:11], v[10:11], v[35:36], -v[37:38]
	;; [unrolled: 1-line block ×4, first 2 shown]
	v_add_f64 v[35:36], v[0:1], v[16:17]
	v_add_f64 v[27:28], v[4:5], v[8:9]
	;; [unrolled: 1-line block ×3, first 2 shown]
	v_add_f64 v[43:44], v[16:17], -v[12:13]
	v_add_f64 v[31:32], v[6:7], v[10:11]
	v_add_f64 v[41:42], v[2:3], v[18:19]
	;; [unrolled: 1-line block ×3, first 2 shown]
	v_add_f64 v[37:38], v[18:19], -v[14:15]
	v_add_f64 v[39:40], v[6:7], -v[10:11]
	;; [unrolled: 1-line block ×8, first 2 shown]
	v_fma_f64 v[27:28], v[27:28], -0.5, v[0:1]
	v_fma_f64 v[0:1], v[29:30], -0.5, v[0:1]
	v_add_f64 v[29:30], v[4:5], -v[8:9]
	v_fma_f64 v[31:32], v[31:32], -0.5, v[2:3]
	v_add_f64 v[6:7], v[41:42], v[6:7]
	v_fma_f64 v[2:3], v[33:34], -0.5, v[2:3]
	v_add_f64 v[33:34], v[16:17], -v[4:5]
	v_add_f64 v[16:17], v[4:5], -v[16:17]
	v_add_f64 v[4:5], v[35:36], v[4:5]
	v_add_f64 v[18:19], v[18:19], v[58:59]
	v_fma_f64 v[35:36], v[37:38], s[6:7], v[27:28]
	v_fma_f64 v[27:28], v[37:38], s[8:9], v[27:28]
	;; [unrolled: 1-line block ×8, first 2 shown]
	v_add_f64 v[4:5], v[4:5], v[8:9]
	v_add_f64 v[6:7], v[6:7], v[10:11]
	;; [unrolled: 1-line block ×5, first 2 shown]
	v_fma_f64 v[8:9], v[39:40], s[16:17], v[35:36]
	v_fma_f64 v[10:11], v[39:40], s[14:15], v[27:28]
	v_fma_f64 v[27:28], v[37:38], s[16:17], v[41:42]
	v_fma_f64 v[35:36], v[37:38], s[14:15], v[0:1]
	v_fma_f64 v[37:38], v[29:30], s[14:15], v[77:78]
	v_fma_f64 v[39:40], v[43:44], s[14:15], v[79:80]
	v_fma_f64 v[41:42], v[43:44], s[16:17], v[2:3]
	v_fma_f64 v[31:32], v[29:30], s[16:17], v[31:32]
	v_add_f64 v[1:2], v[4:5], v[12:13]
	v_add_f64 v[3:4], v[6:7], v[14:15]
	v_mov_b32_e32 v0, 4
	v_fma_f64 v[5:6], v[33:34], s[18:19], v[8:9]
	v_fma_f64 v[9:10], v[33:34], s[18:19], v[10:11]
	;; [unrolled: 1-line block ×8, first 2 shown]
	v_and_b32_e32 v17, 0xffff, v51
	v_lshlrev_b32_sdwa v18, v0, v81 dst_sel:DWORD dst_unused:UNUSED_PAD src0_sel:DWORD src1_sel:BYTE_0
	v_mad_u32_u24 v17, 0x410, v17, 0
	v_add3_u32 v17, v17, v18, v76
	ds_write_b128 v17, v[1:4]
	ds_write_b128 v17, v[5:8] offset:208
	ds_write_b128 v17, v[13:16] offset:416
	;; [unrolled: 1-line block ×4, first 2 shown]
	s_and_saveexec_b32 s1, s0
	s_cbranch_execz .LBB0_18
; %bb.17:
	v_add_nc_u16 v1, v150, 0x41
	v_and_b32_e32 v2, 0xff, v1
	v_mul_lo_u16 v2, 0x4f, v2
	v_lshrrev_b16 v56, 10, v2
	v_mul_lo_u16 v2, v56, 13
	v_sub_nc_u16 v57, v1, v2
	v_lshlrev_b32_sdwa v13, v26, v57 dst_sel:DWORD dst_unused:UNUSED_PAD src0_sel:DWORD src1_sel:BYTE_0
	v_lshlrev_b32_sdwa v0, v0, v57 dst_sel:DWORD dst_unused:UNUSED_PAD src0_sel:DWORD src1_sel:BYTE_0
	s_clause 0x3
	global_load_dwordx4 v[1:4], v13, s[12:13] offset:16
	global_load_dwordx4 v[5:8], v13, s[12:13]
	global_load_dwordx4 v[9:12], v13, s[12:13] offset:48
	global_load_dwordx4 v[13:16], v13, s[12:13] offset:32
	s_waitcnt vmcnt(3)
	v_mul_f64 v[17:18], v[60:61], v[3:4]
	s_waitcnt vmcnt(2)
	v_mul_f64 v[26:27], v[52:53], v[7:8]
	;; [unrolled: 2-line block ×4, first 2 shown]
	v_mul_f64 v[3:4], v[62:63], v[3:4]
	v_mul_f64 v[15:16], v[66:67], v[15:16]
	;; [unrolled: 1-line block ×4, first 2 shown]
	v_fma_f64 v[17:18], v[62:63], v[1:2], -v[17:18]
	v_fma_f64 v[26:27], v[54:55], v[5:6], -v[26:27]
	;; [unrolled: 1-line block ×4, first 2 shown]
	v_fma_f64 v[1:2], v[60:61], v[1:2], v[3:4]
	v_fma_f64 v[3:4], v[64:65], v[13:14], v[15:16]
	v_fma_f64 v[5:6], v[52:53], v[5:6], v[7:8]
	v_fma_f64 v[7:8], v[68:69], v[9:10], v[11:12]
	v_add_f64 v[36:37], v[22:23], v[26:27]
	v_add_f64 v[9:10], v[26:27], v[28:29]
	;; [unrolled: 1-line block ×3, first 2 shown]
	v_add_f64 v[40:41], v[26:27], -v[28:29]
	v_add_f64 v[13:14], v[1:2], v[3:4]
	v_add_f64 v[38:39], v[20:21], v[5:6]
	;; [unrolled: 1-line block ×3, first 2 shown]
	v_add_f64 v[32:33], v[1:2], -v[3:4]
	v_add_f64 v[34:35], v[5:6], -v[7:8]
	v_add_f64 v[44:45], v[28:29], -v[30:31]
	v_add_f64 v[46:47], v[1:2], -v[5:6]
	v_add_f64 v[5:6], v[5:6], -v[1:2]
	v_add_f64 v[50:51], v[7:8], -v[3:4]
	v_add_f64 v[42:43], v[30:31], -v[28:29]
	v_add_f64 v[48:49], v[3:4], -v[7:8]
	v_fma_f64 v[9:10], v[9:10], -0.5, v[22:23]
	v_fma_f64 v[11:12], v[11:12], -0.5, v[22:23]
	v_add_f64 v[22:23], v[17:18], -v[30:31]
	v_fma_f64 v[13:14], v[13:14], -0.5, v[20:21]
	v_add_f64 v[1:2], v[38:39], v[1:2]
	v_fma_f64 v[15:16], v[15:16], -0.5, v[20:21]
	v_add_f64 v[19:20], v[17:18], -v[26:27]
	v_add_f64 v[26:27], v[26:27], -v[17:18]
	v_add_f64 v[17:18], v[36:37], v[17:18]
	v_and_b32_e32 v21, 0xffff, v56
	v_mad_u32_u24 v21, 0x410, v21, 0
	v_add3_u32 v0, v21, v0, v76
	v_fma_f64 v[36:37], v[32:33], s[8:9], v[9:10]
	v_fma_f64 v[9:10], v[32:33], s[6:7], v[9:10]
	;; [unrolled: 1-line block ×8, first 2 shown]
	v_add_f64 v[26:27], v[26:27], v[44:45]
	v_add_f64 v[44:45], v[5:6], v[50:51]
	;; [unrolled: 1-line block ×6, first 2 shown]
	v_fma_f64 v[17:18], v[34:35], s[16:17], v[36:37]
	v_fma_f64 v[9:10], v[34:35], s[14:15], v[9:10]
	;; [unrolled: 1-line block ×8, first 2 shown]
	v_add_f64 v[3:4], v[5:6], v[28:29]
	v_add_f64 v[1:2], v[1:2], v[7:8]
	v_fma_f64 v[7:8], v[19:20], s[18:19], v[17:18]
	v_fma_f64 v[11:12], v[19:20], s[18:19], v[9:10]
	;; [unrolled: 1-line block ×8, first 2 shown]
	ds_write_b128 v0, v[1:4]
	ds_write_b128 v0, v[17:20] offset:208
	ds_write_b128 v0, v[9:12] offset:416
	;; [unrolled: 1-line block ×4, first 2 shown]
.LBB0_18:
	s_or_b32 exec_lo, exec_lo, s1
	s_waitcnt lgkmcnt(0)
	s_barrier
	buffer_gl0_inv
	s_and_saveexec_b32 s0, vcc_lo
	s_cbranch_execz .LBB0_20
; %bb.19:
	v_lshlrev_b32_e32 v0, 3, v150
	v_mov_b32_e32 v1, 0
	v_mul_lo_u32 v94, s5, v74
	v_mul_lo_u32 v95, s4, v75
	v_mad_u64_u32 v[70:71], null, s4, v74, 0
	v_lshlrev_b64 v[0:1], 4, v[0:1]
	v_add_nc_u32_e32 v104, 0x41, v149
	v_add_nc_u32_e32 v105, 0x82, v149
	;; [unrolled: 1-line block ×4, first 2 shown]
	s_mov_b32 s6, 0x8c811c17
	v_add_co_u32 v30, vcc_lo, s12, v0
	v_add_co_ci_u32_e32 v31, vcc_lo, s13, v1, vcc_lo
	v_add3_u32 v71, v71, v95, v94
	v_mad_u64_u32 v[74:75], null, s2, v104, 0
	s_clause 0x7
	global_load_dwordx4 v[0:3], v[30:31], off offset:880
	global_load_dwordx4 v[4:7], v[30:31], off offset:896
	;; [unrolled: 1-line block ×8, first 2 shown]
	ds_read_b128 v[34:37], v25 offset:3120
	ds_read_b128 v[38:41], v25 offset:2080
	;; [unrolled: 1-line block ×8, first 2 shown]
	ds_read_b128 v[66:69], v24
	v_mad_u64_u32 v[76:77], null, s2, v105, 0
	v_mad_u64_u32 v[78:79], null, s2, v106, 0
	v_mad_u64_u32 v[80:81], null, s2, v107, 0
	v_mad_u64_u32 v[24:25], null, s2, v149, 0
	s_mov_b32 s7, 0x3fef838b
	v_add_nc_u32_e32 v108, 0x145, v149
	v_add_nc_u32_e32 v109, 0x186, v149
	;; [unrolled: 1-line block ×4, first 2 shown]
	s_mov_b32 s16, 0xa2cf5039
	v_mad_u64_u32 v[82:83], null, s2, v108, 0
	v_mad_u64_u32 v[88:89], null, s2, v109, 0
	;; [unrolled: 1-line block ×4, first 2 shown]
	s_mov_b32 s17, 0x3fe8836f
	s_mov_b32 s9, 0xbfe491b7
	;; [unrolled: 1-line block ×3, first 2 shown]
	v_lshlrev_b64 v[70:71], 4, v[70:71]
	v_lshlrev_b64 v[72:73], 4, v[72:73]
	s_mov_b32 s14, 0x7e0b738b
	s_mov_b32 s15, 0x3fc63a1a
	;; [unrolled: 1-line block ×10, first 2 shown]
	s_waitcnt vmcnt(7) lgkmcnt(4)
	v_mul_f64 v[84:85], v[2:3], v[52:53]
	s_waitcnt vmcnt(6) lgkmcnt(3)
	v_mul_f64 v[86:87], v[6:7], v[56:57]
	v_mul_f64 v[2:3], v[50:51], v[2:3]
	;; [unrolled: 1-line block ×3, first 2 shown]
	s_waitcnt vmcnt(5)
	v_mul_f64 v[94:95], v[10:11], v[40:41]
	s_waitcnt vmcnt(4)
	v_mul_f64 v[96:97], v[14:15], v[48:49]
	v_mul_f64 v[10:11], v[38:39], v[10:11]
	;; [unrolled: 1-line block ×3, first 2 shown]
	s_waitcnt vmcnt(2) lgkmcnt(2)
	v_mul_f64 v[100:101], v[22:23], v[60:61]
	v_mul_f64 v[22:23], v[58:59], v[22:23]
	s_waitcnt lgkmcnt(1)
	v_mul_f64 v[98:99], v[18:19], v[64:65]
	v_mul_f64 v[18:19], v[62:63], v[18:19]
	s_waitcnt vmcnt(1)
	v_mad_u64_u32 v[102:103], null, s3, v149, v[25:26]
	v_mov_b32_e32 v25, v102
	v_fma_f64 v[50:51], v[0:1], v[50:51], v[84:85]
	v_fma_f64 v[54:55], v[4:5], v[54:55], v[86:87]
	v_fma_f64 v[0:1], v[0:1], v[52:53], -v[2:3]
	v_fma_f64 v[2:3], v[4:5], v[56:57], -v[6:7]
	v_mul_f64 v[52:53], v[28:29], v[36:37]
	s_waitcnt vmcnt(0)
	v_mul_f64 v[56:57], v[32:33], v[44:45]
	v_mul_f64 v[28:29], v[34:35], v[28:29]
	;; [unrolled: 1-line block ×3, first 2 shown]
	v_fma_f64 v[38:39], v[8:9], v[38:39], v[94:95]
	v_fma_f64 v[46:47], v[12:13], v[46:47], v[96:97]
	v_fma_f64 v[8:9], v[8:9], v[40:41], -v[10:11]
	v_fma_f64 v[10:11], v[12:13], v[48:49], -v[14:15]
	;; [unrolled: 1-line block ×3, first 2 shown]
	v_fma_f64 v[62:63], v[16:17], v[62:63], v[98:99]
	v_fma_f64 v[12:13], v[16:17], v[64:65], -v[18:19]
	v_fma_f64 v[16:17], v[20:21], v[58:59], v[100:101]
	v_mov_b32_e32 v4, v75
	v_mov_b32_e32 v5, v77
	;; [unrolled: 1-line block ×6, first 2 shown]
	v_mad_u64_u32 v[48:49], null, s3, v104, v[4:5]
	v_add_f64 v[22:23], v[50:51], -v[54:55]
	v_add_f64 v[40:41], v[0:1], -v[2:3]
	v_mad_u64_u32 v[4:5], null, s3, v105, v[5:6]
	v_mad_u64_u32 v[5:6], null, s3, v106, v[6:7]
	v_fma_f64 v[34:35], v[26:27], v[34:35], v[52:53]
	v_fma_f64 v[26:27], v[26:27], v[36:37], -v[28:29]
	v_mad_u64_u32 v[6:7], null, s3, v107, v[7:8]
	v_fma_f64 v[28:29], v[30:31], v[44:45], -v[32:33]
	v_add_f64 v[32:33], v[8:9], v[10:11]
	v_add_f64 v[36:37], v[38:39], v[46:47]
	v_fma_f64 v[30:31], v[30:31], v[42:43], v[56:57]
	v_add_f64 v[38:39], v[38:39], -v[46:47]
	v_add_f64 v[7:8], v[8:9], -v[10:11]
	v_add_f64 v[42:43], v[12:13], v[14:15]
	v_add_f64 v[44:45], v[62:63], v[16:17]
	;; [unrolled: 1-line block ×4, first 2 shown]
	v_add_f64 v[16:17], v[62:63], -v[16:17]
	v_add_f64 v[11:12], v[12:13], -v[14:15]
	v_mul_f64 v[52:53], v[22:23], s[6:7]
	v_mul_f64 v[56:57], v[40:41], s[6:7]
	v_mov_b32_e32 v21, v93
	v_mov_b32_e32 v20, v91
	v_mad_u64_u32 v[58:59], null, s3, v108, v[18:19]
	v_mul_f64 v[85:86], v[22:23], s[8:9]
	v_mad_u64_u32 v[59:60], null, s3, v111, v[21:22]
	v_mad_u64_u32 v[13:14], null, s3, v109, v[19:20]
	s_waitcnt lgkmcnt(0)
	v_fma_f64 v[60:61], v[32:33], s[16:17], v[68:69]
	v_fma_f64 v[62:63], v[36:37], s[16:17], v[66:67]
	v_mul_f64 v[95:96], v[40:41], s[8:9]
	v_mad_u64_u32 v[14:15], null, s3, v110, v[20:21]
	v_add_f64 v[18:19], v[26:27], v[28:29]
	v_add_f64 v[20:21], v[34:35], v[30:31]
	;; [unrolled: 1-line block ×4, first 2 shown]
	v_fma_f64 v[93:94], v[46:47], s[16:17], v[68:69]
	v_fma_f64 v[97:98], v[9:10], s[16:17], v[66:67]
	v_fma_f64 v[52:53], v[38:39], s[8:9], -v[52:53]
	v_fma_f64 v[56:57], v[7:8], s[8:9], -v[56:57]
	s_mov_b32 s9, 0x3fe491b7
	v_fma_f64 v[99:100], v[42:43], s[16:17], v[68:69]
	v_fma_f64 v[103:104], v[44:45], s[16:17], v[66:67]
	v_mul_f64 v[105:106], v[16:17], s[8:9]
	v_mul_f64 v[107:108], v[11:12], s[8:9]
	v_add_co_u32 v15, vcc_lo, s10, v70
	v_add_co_ci_u32_e32 v49, vcc_lo, s11, v71, vcc_lo
	v_add_f64 v[30:31], v[34:35], -v[30:31]
	v_add_co_u32 v87, vcc_lo, v15, v72
	v_fma_f64 v[34:35], v[46:47], s[14:15], v[60:61]
	v_add_f64 v[26:27], v[26:27], -v[28:29]
	v_fma_f64 v[28:29], v[9:10], s[14:15], v[62:63]
	v_add_co_ci_u32_e32 v109, vcc_lo, v49, v73, vcc_lo
	v_mov_b32_e32 v75, v48
	v_add_f64 v[48:49], v[18:19], v[64:65]
	v_add_f64 v[60:61], v[20:21], v[83:84]
	v_fma_f64 v[62:63], v[16:17], s[6:7], v[85:86]
	v_fma_f64 v[70:71], v[42:43], s[14:15], v[93:94]
	;; [unrolled: 1-line block ×8, first 2 shown]
	v_mov_b32_e32 v77, v4
	v_mov_b32_e32 v79, v5
	v_add_f64 v[4:5], v[22:23], v[16:17]
	v_add_f64 v[101:102], v[18:19], v[68:69]
	;; [unrolled: 1-line block ×3, first 2 shown]
	v_fma_f64 v[52:53], v[30:31], s[0:1], v[52:53]
	v_fma_f64 v[34:35], v[18:19], -0.5, v[34:35]
	v_fma_f64 v[56:57], v[26:27], s[0:1], v[56:57]
	v_fma_f64 v[28:29], v[20:21], -0.5, v[28:29]
	v_add_f64 v[103:104], v[40:41], v[11:12]
	v_add_f64 v[105:106], v[20:21], v[66:67]
	;; [unrolled: 1-line block ×5, first 2 shown]
	v_fma_f64 v[50:51], v[30:31], s[18:19], v[62:63]
	v_fma_f64 v[60:61], v[18:19], -0.5, v[70:71]
	v_fma_f64 v[62:63], v[26:27], s[18:19], v[72:73]
	v_fma_f64 v[70:71], v[20:21], -0.5, v[85:86]
	v_fma_f64 v[18:19], v[18:19], -0.5, v[93:94]
	;; [unrolled: 1-line block ×3, first 2 shown]
	v_fma_f64 v[30:31], v[30:31], s[0:1], v[97:98]
	v_fma_f64 v[26:27], v[26:27], s[0:1], v[99:100]
	v_mov_b32_e32 v89, v13
	v_mov_b32_e32 v91, v14
	v_add_f64 v[4:5], v[4:5], -v[38:39]
	v_lshlrev_b64 v[24:25], 4, v[24:25]
	v_fma_f64 v[64:65], v[64:65], -0.5, v[101:102]
	v_fma_f64 v[52:53], v[16:17], s[4:5], v[52:53]
	v_fma_f64 v[15:16], v[42:43], s[12:13], v[34:35]
	;; [unrolled: 1-line block ×4, first 2 shown]
	v_add_f64 v[13:14], v[103:104], -v[7:8]
	v_add_co_u32 v56, vcc_lo, v87, v24
	v_fma_f64 v[72:73], v[107:108], -0.5, v[105:106]
	v_add_f64 v[28:29], v[2:3], v[0:1]
	v_fma_f64 v[38:39], v[38:39], s[4:5], v[50:51]
	v_fma_f64 v[32:33], v[32:33], s[12:13], v[60:61]
	;; [unrolled: 1-line block ×4, first 2 shown]
	v_add_f64 v[42:43], v[54:55], v[48:49]
	v_fma_f64 v[17:18], v[46:47], s[12:13], v[18:19]
	v_fma_f64 v[20:21], v[9:10], s[12:13], v[20:21]
	;; [unrolled: 1-line block ×4, first 2 shown]
	v_mov_b32_e32 v81, v6
	v_add_co_ci_u32_e32 v57, vcc_lo, v109, v25, vcc_lo
	v_mul_f64 v[24:25], v[4:5], s[0:1]
	v_fma_f64 v[2:3], v[4:5], s[0:1], v[64:65]
	v_add_f64 v[6:7], v[52:53], v[15:16]
	v_lshlrev_b64 v[22:23], 4, v[74:75]
	v_add_f64 v[4:5], v[11:12], -v[34:35]
	v_mul_f64 v[60:61], v[13:14], s[0:1]
	v_lshlrev_b64 v[26:27], 4, v[76:77]
	v_lshlrev_b64 v[30:31], 4, v[78:79]
	v_fma_f64 v[0:1], v[13:14], s[18:19], v[72:73]
	v_add_f64 v[10:11], v[68:69], v[28:29]
	v_mov_b32_e32 v83, v58
	v_add_f64 v[14:15], v[38:39], v[32:33]
	v_add_co_u32 v32, vcc_lo, v87, v22
	v_add_f64 v[12:13], v[36:37], -v[44:45]
	v_add_f64 v[8:9], v[66:67], v[42:43]
	v_add_co_ci_u32_e32 v33, vcc_lo, v109, v23, vcc_lo
	v_add_f64 v[18:19], v[46:47], v[17:18]
	v_add_f64 v[16:17], v[20:21], -v[40:41]
	v_add_co_u32 v36, vcc_lo, v87, v26
	v_add_co_ci_u32_e32 v37, vcc_lo, v109, v27, vcc_lo
	v_lshlrev_b64 v[48:49], 4, v[80:81]
	v_add_co_u32 v42, vcc_lo, v87, v30
	v_fma_f64 v[22:23], v[24:25], -2.0, v[2:3]
	v_fma_f64 v[26:27], v[52:53], -2.0, v[6:7]
	v_fma_f64 v[24:25], v[34:35], 2.0, v[4:5]
	v_fma_f64 v[20:21], v[60:61], 2.0, v[0:1]
	v_add_co_ci_u32_e32 v43, vcc_lo, v109, v31, vcc_lo
	v_fma_f64 v[30:31], v[38:39], -2.0, v[14:15]
	v_lshlrev_b64 v[50:51], 4, v[82:83]
	v_lshlrev_b64 v[54:55], 4, v[88:89]
	v_fma_f64 v[28:29], v[44:45], 2.0, v[12:13]
	global_store_dwordx4 v[56:57], v[8:11], off
	v_add_co_u32 v48, vcc_lo, v87, v48
	v_fma_f64 v[10:11], v[46:47], -2.0, v[18:19]
	v_fma_f64 v[8:9], v[40:41], 2.0, v[16:17]
	v_mov_b32_e32 v93, v59
	v_add_co_ci_u32_e32 v49, vcc_lo, v109, v49, vcc_lo
	global_store_dwordx4 v[32:33], v[16:19], off
	global_store_dwordx4 v[36:37], v[12:15], off
	;; [unrolled: 1-line block ×3, first 2 shown]
	v_add_co_u32 v0, vcc_lo, v87, v50
	v_lshlrev_b64 v[2:3], 4, v[90:91]
	v_add_co_ci_u32_e32 v1, vcc_lo, v109, v51, vcc_lo
	v_add_co_u32 v12, vcc_lo, v87, v54
	v_lshlrev_b64 v[14:15], 4, v[92:93]
	v_add_co_ci_u32_e32 v13, vcc_lo, v109, v55, vcc_lo
	v_add_co_u32 v2, vcc_lo, v87, v2
	v_add_co_ci_u32_e32 v3, vcc_lo, v109, v3, vcc_lo
	v_add_co_u32 v14, vcc_lo, v87, v14
	v_add_co_ci_u32_e32 v15, vcc_lo, v109, v15, vcc_lo
	global_store_dwordx4 v[48:49], v[4:7], off
	global_store_dwordx4 v[0:1], v[24:27], off
	;; [unrolled: 1-line block ×5, first 2 shown]
.LBB0_20:
	s_endpgm
	.section	.rodata,"a",@progbits
	.p2align	6, 0x0
	.amdhsa_kernel fft_rtc_back_len585_factors_13_5_9_wgs_195_tpt_65_dp_op_CI_CI_sbrr_dirReg
		.amdhsa_group_segment_fixed_size 0
		.amdhsa_private_segment_fixed_size 0
		.amdhsa_kernarg_size 104
		.amdhsa_user_sgpr_count 6
		.amdhsa_user_sgpr_private_segment_buffer 1
		.amdhsa_user_sgpr_dispatch_ptr 0
		.amdhsa_user_sgpr_queue_ptr 0
		.amdhsa_user_sgpr_kernarg_segment_ptr 1
		.amdhsa_user_sgpr_dispatch_id 0
		.amdhsa_user_sgpr_flat_scratch_init 0
		.amdhsa_user_sgpr_private_segment_size 0
		.amdhsa_wavefront_size32 1
		.amdhsa_uses_dynamic_stack 0
		.amdhsa_system_sgpr_private_segment_wavefront_offset 0
		.amdhsa_system_sgpr_workgroup_id_x 1
		.amdhsa_system_sgpr_workgroup_id_y 0
		.amdhsa_system_sgpr_workgroup_id_z 0
		.amdhsa_system_sgpr_workgroup_info 0
		.amdhsa_system_vgpr_workitem_id 0
		.amdhsa_next_free_vgpr 193
		.amdhsa_next_free_sgpr 46
		.amdhsa_reserve_vcc 1
		.amdhsa_reserve_flat_scratch 0
		.amdhsa_float_round_mode_32 0
		.amdhsa_float_round_mode_16_64 0
		.amdhsa_float_denorm_mode_32 3
		.amdhsa_float_denorm_mode_16_64 3
		.amdhsa_dx10_clamp 1
		.amdhsa_ieee_mode 1
		.amdhsa_fp16_overflow 0
		.amdhsa_workgroup_processor_mode 1
		.amdhsa_memory_ordered 1
		.amdhsa_forward_progress 0
		.amdhsa_shared_vgpr_count 0
		.amdhsa_exception_fp_ieee_invalid_op 0
		.amdhsa_exception_fp_denorm_src 0
		.amdhsa_exception_fp_ieee_div_zero 0
		.amdhsa_exception_fp_ieee_overflow 0
		.amdhsa_exception_fp_ieee_underflow 0
		.amdhsa_exception_fp_ieee_inexact 0
		.amdhsa_exception_int_div_zero 0
	.end_amdhsa_kernel
	.text
.Lfunc_end0:
	.size	fft_rtc_back_len585_factors_13_5_9_wgs_195_tpt_65_dp_op_CI_CI_sbrr_dirReg, .Lfunc_end0-fft_rtc_back_len585_factors_13_5_9_wgs_195_tpt_65_dp_op_CI_CI_sbrr_dirReg
                                        ; -- End function
	.section	.AMDGPU.csdata,"",@progbits
; Kernel info:
; codeLenInByte = 9744
; NumSgprs: 48
; NumVgprs: 193
; ScratchSize: 0
; MemoryBound: 1
; FloatMode: 240
; IeeeMode: 1
; LDSByteSize: 0 bytes/workgroup (compile time only)
; SGPRBlocks: 5
; VGPRBlocks: 24
; NumSGPRsForWavesPerEU: 48
; NumVGPRsForWavesPerEU: 193
; Occupancy: 4
; WaveLimiterHint : 1
; COMPUTE_PGM_RSRC2:SCRATCH_EN: 0
; COMPUTE_PGM_RSRC2:USER_SGPR: 6
; COMPUTE_PGM_RSRC2:TRAP_HANDLER: 0
; COMPUTE_PGM_RSRC2:TGID_X_EN: 1
; COMPUTE_PGM_RSRC2:TGID_Y_EN: 0
; COMPUTE_PGM_RSRC2:TGID_Z_EN: 0
; COMPUTE_PGM_RSRC2:TIDIG_COMP_CNT: 0
	.text
	.p2alignl 6, 3214868480
	.fill 48, 4, 3214868480
	.type	__hip_cuid_806d600d876598ab,@object ; @__hip_cuid_806d600d876598ab
	.section	.bss,"aw",@nobits
	.globl	__hip_cuid_806d600d876598ab
__hip_cuid_806d600d876598ab:
	.byte	0                               ; 0x0
	.size	__hip_cuid_806d600d876598ab, 1

	.ident	"AMD clang version 19.0.0git (https://github.com/RadeonOpenCompute/llvm-project roc-6.4.0 25133 c7fe45cf4b819c5991fe208aaa96edf142730f1d)"
	.section	".note.GNU-stack","",@progbits
	.addrsig
	.addrsig_sym __hip_cuid_806d600d876598ab
	.amdgpu_metadata
---
amdhsa.kernels:
  - .args:
      - .actual_access:  read_only
        .address_space:  global
        .offset:         0
        .size:           8
        .value_kind:     global_buffer
      - .offset:         8
        .size:           8
        .value_kind:     by_value
      - .actual_access:  read_only
        .address_space:  global
        .offset:         16
        .size:           8
        .value_kind:     global_buffer
      - .actual_access:  read_only
        .address_space:  global
        .offset:         24
        .size:           8
        .value_kind:     global_buffer
      - .actual_access:  read_only
        .address_space:  global
        .offset:         32
        .size:           8
        .value_kind:     global_buffer
      - .offset:         40
        .size:           8
        .value_kind:     by_value
      - .actual_access:  read_only
        .address_space:  global
        .offset:         48
        .size:           8
        .value_kind:     global_buffer
      - .actual_access:  read_only
        .address_space:  global
        .offset:         56
        .size:           8
        .value_kind:     global_buffer
      - .offset:         64
        .size:           4
        .value_kind:     by_value
      - .actual_access:  read_only
        .address_space:  global
        .offset:         72
        .size:           8
        .value_kind:     global_buffer
      - .actual_access:  read_only
        .address_space:  global
        .offset:         80
        .size:           8
        .value_kind:     global_buffer
      - .actual_access:  read_only
        .address_space:  global
        .offset:         88
        .size:           8
        .value_kind:     global_buffer
      - .actual_access:  write_only
        .address_space:  global
        .offset:         96
        .size:           8
        .value_kind:     global_buffer
    .group_segment_fixed_size: 0
    .kernarg_segment_align: 8
    .kernarg_segment_size: 104
    .language:       OpenCL C
    .language_version:
      - 2
      - 0
    .max_flat_workgroup_size: 195
    .name:           fft_rtc_back_len585_factors_13_5_9_wgs_195_tpt_65_dp_op_CI_CI_sbrr_dirReg
    .private_segment_fixed_size: 0
    .sgpr_count:     48
    .sgpr_spill_count: 0
    .symbol:         fft_rtc_back_len585_factors_13_5_9_wgs_195_tpt_65_dp_op_CI_CI_sbrr_dirReg.kd
    .uniform_work_group_size: 1
    .uses_dynamic_stack: false
    .vgpr_count:     193
    .vgpr_spill_count: 0
    .wavefront_size: 32
    .workgroup_processor_mode: 1
amdhsa.target:   amdgcn-amd-amdhsa--gfx1030
amdhsa.version:
  - 1
  - 2
...

	.end_amdgpu_metadata
